;; amdgpu-corpus repo=ROCm/rocFFT kind=compiled arch=gfx1030 opt=O3
	.text
	.amdgcn_target "amdgcn-amd-amdhsa--gfx1030"
	.amdhsa_code_object_version 6
	.protected	fft_rtc_fwd_len66_factors_6_11_wgs_253_tpt_11_half_ip_CI_unitstride_sbrr_R2C_dirReg ; -- Begin function fft_rtc_fwd_len66_factors_6_11_wgs_253_tpt_11_half_ip_CI_unitstride_sbrr_R2C_dirReg
	.globl	fft_rtc_fwd_len66_factors_6_11_wgs_253_tpt_11_half_ip_CI_unitstride_sbrr_R2C_dirReg
	.p2align	8
	.type	fft_rtc_fwd_len66_factors_6_11_wgs_253_tpt_11_half_ip_CI_unitstride_sbrr_R2C_dirReg,@function
fft_rtc_fwd_len66_factors_6_11_wgs_253_tpt_11_half_ip_CI_unitstride_sbrr_R2C_dirReg: ; @fft_rtc_fwd_len66_factors_6_11_wgs_253_tpt_11_half_ip_CI_unitstride_sbrr_R2C_dirReg
; %bb.0:
	s_load_dwordx4 s[8:11], s[4:5], 0x0
	v_mul_u32_u24_e32 v1, 0x1746, v0
	s_clause 0x1
	s_load_dwordx2 s[2:3], s[4:5], 0x50
	s_load_dwordx2 s[12:13], s[4:5], 0x18
	v_mov_b32_e32 v5, 0
	v_mov_b32_e32 v3, 0
	;; [unrolled: 1-line block ×3, first 2 shown]
	v_lshrrev_b32_e32 v1, 16, v1
	v_mad_u64_u32 v[1:2], null, s6, 23, v[1:2]
	v_mov_b32_e32 v2, v5
	v_mov_b32_e32 v10, v2
	;; [unrolled: 1-line block ×3, first 2 shown]
	s_waitcnt lgkmcnt(0)
	v_cmp_lt_u64_e64 s0, s[10:11], 2
	s_and_b32 vcc_lo, exec_lo, s0
	s_cbranch_vccnz .LBB0_8
; %bb.1:
	s_load_dwordx2 s[0:1], s[4:5], 0x10
	v_mov_b32_e32 v3, 0
	v_mov_b32_e32 v8, v2
	s_add_u32 s6, s12, 8
	v_mov_b32_e32 v4, 0
	v_mov_b32_e32 v7, v1
	s_addc_u32 s7, s13, 0
	s_mov_b64 s[16:17], 1
	s_waitcnt lgkmcnt(0)
	s_add_u32 s14, s0, 8
	s_addc_u32 s15, s1, 0
.LBB0_2:                                ; =>This Inner Loop Header: Depth=1
	s_load_dwordx2 s[18:19], s[14:15], 0x0
                                        ; implicit-def: $vgpr9_vgpr10
	s_mov_b32 s0, exec_lo
	s_waitcnt lgkmcnt(0)
	v_or_b32_e32 v6, s19, v8
	v_cmpx_ne_u64_e32 0, v[5:6]
	s_xor_b32 s1, exec_lo, s0
	s_cbranch_execz .LBB0_4
; %bb.3:                                ;   in Loop: Header=BB0_2 Depth=1
	v_cvt_f32_u32_e32 v2, s18
	v_cvt_f32_u32_e32 v6, s19
	s_sub_u32 s0, 0, s18
	s_subb_u32 s20, 0, s19
	v_fmac_f32_e32 v2, 0x4f800000, v6
	v_rcp_f32_e32 v2, v2
	v_mul_f32_e32 v2, 0x5f7ffffc, v2
	v_mul_f32_e32 v6, 0x2f800000, v2
	v_trunc_f32_e32 v6, v6
	v_fmac_f32_e32 v2, 0xcf800000, v6
	v_cvt_u32_f32_e32 v6, v6
	v_cvt_u32_f32_e32 v2, v2
	v_mul_lo_u32 v9, s0, v6
	v_mul_hi_u32 v10, s0, v2
	v_mul_lo_u32 v11, s20, v2
	v_add_nc_u32_e32 v9, v10, v9
	v_mul_lo_u32 v10, s0, v2
	v_add_nc_u32_e32 v9, v9, v11
	v_mul_hi_u32 v11, v2, v10
	v_mul_lo_u32 v12, v2, v9
	v_mul_hi_u32 v13, v2, v9
	v_mul_hi_u32 v14, v6, v10
	v_mul_lo_u32 v10, v6, v10
	v_mul_hi_u32 v15, v6, v9
	v_mul_lo_u32 v9, v6, v9
	v_add_co_u32 v11, vcc_lo, v11, v12
	v_add_co_ci_u32_e32 v12, vcc_lo, 0, v13, vcc_lo
	v_add_co_u32 v10, vcc_lo, v11, v10
	v_add_co_ci_u32_e32 v10, vcc_lo, v12, v14, vcc_lo
	v_add_co_ci_u32_e32 v11, vcc_lo, 0, v15, vcc_lo
	v_add_co_u32 v9, vcc_lo, v10, v9
	v_add_co_ci_u32_e32 v10, vcc_lo, 0, v11, vcc_lo
	v_add_co_u32 v2, vcc_lo, v2, v9
	v_add_co_ci_u32_e32 v6, vcc_lo, v6, v10, vcc_lo
	v_mul_hi_u32 v9, s0, v2
	v_mul_lo_u32 v11, s20, v2
	v_mul_lo_u32 v10, s0, v6
	v_add_nc_u32_e32 v9, v9, v10
	v_mul_lo_u32 v10, s0, v2
	v_add_nc_u32_e32 v9, v9, v11
	v_mul_hi_u32 v11, v2, v10
	v_mul_lo_u32 v12, v2, v9
	v_mul_hi_u32 v13, v2, v9
	v_mul_hi_u32 v14, v6, v10
	v_mul_lo_u32 v10, v6, v10
	v_mul_hi_u32 v15, v6, v9
	v_mul_lo_u32 v9, v6, v9
	v_add_co_u32 v11, vcc_lo, v11, v12
	v_add_co_ci_u32_e32 v12, vcc_lo, 0, v13, vcc_lo
	v_add_co_u32 v10, vcc_lo, v11, v10
	v_add_co_ci_u32_e32 v10, vcc_lo, v12, v14, vcc_lo
	v_add_co_ci_u32_e32 v11, vcc_lo, 0, v15, vcc_lo
	v_add_co_u32 v9, vcc_lo, v10, v9
	v_add_co_ci_u32_e32 v10, vcc_lo, 0, v11, vcc_lo
	v_add_co_u32 v2, vcc_lo, v2, v9
	v_add_co_ci_u32_e32 v6, vcc_lo, v6, v10, vcc_lo
	v_mul_hi_u32 v15, v7, v2
	v_mad_u64_u32 v[11:12], null, v8, v2, 0
	v_mad_u64_u32 v[9:10], null, v7, v6, 0
	v_mad_u64_u32 v[13:14], null, v8, v6, 0
	v_add_co_u32 v2, vcc_lo, v15, v9
	v_add_co_ci_u32_e32 v6, vcc_lo, 0, v10, vcc_lo
	v_add_co_u32 v2, vcc_lo, v2, v11
	v_add_co_ci_u32_e32 v2, vcc_lo, v6, v12, vcc_lo
	v_add_co_ci_u32_e32 v6, vcc_lo, 0, v14, vcc_lo
	v_add_co_u32 v2, vcc_lo, v2, v13
	v_add_co_ci_u32_e32 v6, vcc_lo, 0, v6, vcc_lo
	v_mul_lo_u32 v11, s19, v2
	v_mad_u64_u32 v[9:10], null, s18, v2, 0
	v_mul_lo_u32 v12, s18, v6
	v_sub_co_u32 v9, vcc_lo, v7, v9
	v_add3_u32 v10, v10, v12, v11
	v_sub_nc_u32_e32 v11, v8, v10
	v_subrev_co_ci_u32_e64 v11, s0, s19, v11, vcc_lo
	v_add_co_u32 v12, s0, v2, 2
	v_add_co_ci_u32_e64 v13, s0, 0, v6, s0
	v_sub_co_u32 v14, s0, v9, s18
	v_sub_co_ci_u32_e32 v10, vcc_lo, v8, v10, vcc_lo
	v_subrev_co_ci_u32_e64 v11, s0, 0, v11, s0
	v_cmp_le_u32_e32 vcc_lo, s18, v14
	v_cmp_eq_u32_e64 s0, s19, v10
	v_cndmask_b32_e64 v14, 0, -1, vcc_lo
	v_cmp_le_u32_e32 vcc_lo, s19, v11
	v_cndmask_b32_e64 v15, 0, -1, vcc_lo
	v_cmp_le_u32_e32 vcc_lo, s18, v9
	;; [unrolled: 2-line block ×3, first 2 shown]
	v_cndmask_b32_e64 v16, 0, -1, vcc_lo
	v_cmp_eq_u32_e32 vcc_lo, s19, v11
	v_cndmask_b32_e64 v9, v16, v9, s0
	v_cndmask_b32_e32 v11, v15, v14, vcc_lo
	v_add_co_u32 v14, vcc_lo, v2, 1
	v_add_co_ci_u32_e32 v15, vcc_lo, 0, v6, vcc_lo
	v_cmp_ne_u32_e32 vcc_lo, 0, v11
	v_cndmask_b32_e32 v10, v15, v13, vcc_lo
	v_cndmask_b32_e32 v11, v14, v12, vcc_lo
	v_cmp_ne_u32_e32 vcc_lo, 0, v9
	v_cndmask_b32_e32 v10, v6, v10, vcc_lo
	v_cndmask_b32_e32 v9, v2, v11, vcc_lo
.LBB0_4:                                ;   in Loop: Header=BB0_2 Depth=1
	s_andn2_saveexec_b32 s0, s1
	s_cbranch_execz .LBB0_6
; %bb.5:                                ;   in Loop: Header=BB0_2 Depth=1
	v_cvt_f32_u32_e32 v2, s18
	s_sub_i32 s1, 0, s18
	v_rcp_iflag_f32_e32 v2, v2
	v_mul_f32_e32 v2, 0x4f7ffffe, v2
	v_cvt_u32_f32_e32 v2, v2
	v_mul_lo_u32 v6, s1, v2
	v_mul_hi_u32 v6, v2, v6
	v_add_nc_u32_e32 v2, v2, v6
	v_mul_hi_u32 v2, v7, v2
	v_mul_lo_u32 v6, v2, s18
	v_add_nc_u32_e32 v9, 1, v2
	v_sub_nc_u32_e32 v6, v7, v6
	v_subrev_nc_u32_e32 v10, s18, v6
	v_cmp_le_u32_e32 vcc_lo, s18, v6
	v_cndmask_b32_e32 v6, v6, v10, vcc_lo
	v_cndmask_b32_e32 v2, v2, v9, vcc_lo
	v_mov_b32_e32 v10, v5
	v_cmp_le_u32_e32 vcc_lo, s18, v6
	v_add_nc_u32_e32 v9, 1, v2
	v_cndmask_b32_e32 v9, v2, v9, vcc_lo
.LBB0_6:                                ;   in Loop: Header=BB0_2 Depth=1
	s_or_b32 exec_lo, exec_lo, s0
	s_load_dwordx2 s[0:1], s[6:7], 0x0
	v_mul_lo_u32 v2, v10, s18
	v_mul_lo_u32 v6, v9, s19
	v_mad_u64_u32 v[11:12], null, v9, s18, 0
	s_add_u32 s16, s16, 1
	s_addc_u32 s17, s17, 0
	s_add_u32 s6, s6, 8
	s_addc_u32 s7, s7, 0
	;; [unrolled: 2-line block ×3, first 2 shown]
	v_add3_u32 v2, v12, v6, v2
	v_sub_co_u32 v6, vcc_lo, v7, v11
	v_sub_co_ci_u32_e32 v2, vcc_lo, v8, v2, vcc_lo
	s_waitcnt lgkmcnt(0)
	v_mul_lo_u32 v7, s1, v6
	v_mul_lo_u32 v2, s0, v2
	v_mad_u64_u32 v[3:4], null, s0, v6, v[3:4]
	v_cmp_ge_u64_e64 s0, s[16:17], s[10:11]
	s_and_b32 vcc_lo, exec_lo, s0
	v_add3_u32 v4, v7, v4, v2
	s_cbranch_vccnz .LBB0_8
; %bb.7:                                ;   in Loop: Header=BB0_2 Depth=1
	v_mov_b32_e32 v7, v9
	v_mov_b32_e32 v8, v10
	s_branch .LBB0_2
.LBB0_8:
	s_lshl_b64 s[0:1], s[10:11], 3
	v_mul_hi_u32 v2, 0xb21642c9, v1
	s_add_u32 s0, s12, s0
	s_addc_u32 s1, s13, s1
	s_load_dwordx2 s[4:5], s[4:5], 0x20
	s_load_dwordx2 s[0:1], s[0:1], 0x0
	v_mul_hi_u32 v5, 0x1745d175, v0
	v_lshrrev_b32_e32 v2, 4, v2
	v_mul_lo_u32 v6, v2, 23
	v_sub_nc_u32_e32 v1, v1, v6
	s_waitcnt lgkmcnt(0)
	v_cmp_gt_u64_e32 vcc_lo, s[4:5], v[9:10]
	v_mul_lo_u32 v7, s0, v10
	v_mul_lo_u32 v8, s1, v9
	v_mad_u64_u32 v[2:3], null, s0, v9, v[3:4]
	v_mul_u32_u24_e32 v4, 11, v5
	v_mul_u32_u24_e32 v1, 0x43, v1
	v_sub_nc_u32_e32 v0, v0, v4
	v_add3_u32 v3, v8, v3, v7
	v_lshlrev_b32_e32 v4, 2, v1
	v_lshlrev_b32_e32 v15, 2, v0
	v_lshlrev_b64 v[2:3], 2, v[2:3]
	s_and_saveexec_b32 s1, vcc_lo
	s_cbranch_execz .LBB0_10
; %bb.9:
	v_mov_b32_e32 v1, 0
	v_lshlrev_b64 v[5:6], 2, v[0:1]
	v_add_co_u32 v1, s0, s2, v2
	v_add_co_ci_u32_e64 v7, s0, s3, v3, s0
	v_add_co_u32 v5, s0, v1, v5
	v_add_co_ci_u32_e64 v6, s0, v7, v6, s0
	s_clause 0x5
	global_load_dword v1, v[5:6], off
	global_load_dword v7, v[5:6], off offset:44
	global_load_dword v8, v[5:6], off offset:88
	;; [unrolled: 1-line block ×5, first 2 shown]
	v_add3_u32 v6, 0, v4, v15
	s_waitcnt vmcnt(4)
	ds_write2_b32 v6, v1, v7 offset1:11
	s_waitcnt vmcnt(2)
	ds_write2_b32 v6, v8, v9 offset0:22 offset1:33
	s_waitcnt vmcnt(0)
	ds_write2_b32 v6, v10, v5 offset0:44 offset1:55
.LBB0_10:
	s_or_b32 exec_lo, exec_lo, s1
	v_add3_u32 v16, 0, v15, v4
	s_waitcnt lgkmcnt(0)
	s_barrier
	buffer_gl0_inv
	v_add_nc_u32_e32 v1, 0, v4
	ds_read2_b32 v[5:6], v16 offset0:33 offset1:44
	ds_read_b32 v9, v16 offset:220
	ds_read2_b32 v[7:8], v16 offset0:11 offset1:22
	v_mad_u32_u24 v11, v0, 20, v16
	v_cmp_gt_u32_e64 s0, 6, v0
	v_add_nc_u32_e32 v14, v1, v15
                                        ; implicit-def: $vgpr34
                                        ; implicit-def: $vgpr33
                                        ; implicit-def: $vgpr31
                                        ; implicit-def: $vgpr36
                                        ; implicit-def: $vgpr35
	ds_read_b32 v4, v14
	s_waitcnt lgkmcnt(0)
	s_barrier
	buffer_gl0_inv
	v_pk_add_f16 v10, v5, v9
	v_pk_add_f16 v12, v5, v9 neg_lo:[0,1] neg_hi:[0,1]
	v_pk_add_f16 v5, v7, v5
	v_pk_fma_f16 v10, v10, 0.5, v7 op_sel_hi:[1,0,1] neg_lo:[1,0,0] neg_hi:[1,0,0]
	v_pk_add_f16 v7, v8, v6
	v_pk_add_f16 v5, v5, v9
	v_pk_fma_f16 v13, 0x3aee, v12, v10 op_sel:[0,0,1] op_sel_hi:[0,1,0]
	v_pk_fma_f16 v10, 0x3aee, v12, v10 op_sel:[0,0,1] op_sel_hi:[0,1,0] neg_lo:[0,1,0] neg_hi:[0,1,0]
	v_pk_add_f16 v12, v8, v6 neg_lo:[0,1] neg_hi:[0,1]
	v_pk_add_f16 v8, v4, v8
	v_pk_fma_f16 v4, v7, 0.5, v4 op_sel_hi:[1,0,1] neg_lo:[1,0,0] neg_hi:[1,0,0]
	v_lshrrev_b32_e32 v7, 16, v13
	v_bfi_b32 v13, 0xffff, v13, v10
	v_pk_mul_f16 v12, 0x3aee, v12 op_sel_hi:[0,1]
	v_pk_add_f16 v6, v8, v6
	v_mul_f16_e32 v19, 0x3aee, v10
	v_mul_f16_e32 v8, 0xbaee, v7
	v_pk_mul_f16 v9, v13, 0.5 op_sel_hi:[1,0]
	v_pk_add_f16 v18, v4, v12 op_sel:[0,1] op_sel_hi:[1,0]
	v_pk_add_f16 v12, v4, v12 op_sel:[0,1] op_sel_hi:[1,0] neg_lo:[0,1] neg_hi:[0,1]
	v_fmac_f16_e32 v19, 0.5, v7
	v_fmac_f16_e32 v8, 0.5, v10
	v_pk_fma_f16 v9, 0xbaee3aee, v13, v9 op_sel:[0,0,1] op_sel_hi:[1,1,0] neg_lo:[0,0,1] neg_hi:[0,0,1]
	v_pk_add_f16 v17, v6, v5
	v_bfi_b32 v7, 0xffff, v12, v18
	v_pk_add_f16 v4, v6, v5 neg_lo:[0,1] neg_hi:[0,1]
	v_add_f16_e32 v6, v18, v19
	v_pack_b32_f16 v10, v8, v9
	v_add_f16_sdwa v28, v12, v8 dst_sel:DWORD dst_unused:UNUSED_PAD src0_sel:WORD_1 src1_sel:DWORD
	v_sub_f16_sdwa v27, v18, v9 dst_sel:DWORD dst_unused:UNUSED_PAD src0_sel:WORD_1 src1_sel:WORD_1
	v_sub_f16_e32 v5, v18, v19
	v_pk_add_f16 v7, v7, v9
	v_pk_add_f16 v29, v12, v10 op_sel:[1,0] op_sel_hi:[0,1] neg_lo:[0,1] neg_hi:[0,1]
	v_pack_b32_f16 v8, v6, v28
	v_lshrrev_b32_e32 v30, 16, v4
	ds_write2_b32 v11, v7, v4 offset0:2 offset1:3
	ds_write2_b32 v11, v17, v8 offset1:1
	v_alignbit_b32 v9, v27, v29, 16
	v_pack_b32_f16 v10, v5, v29
	v_lshrrev_b32_e32 v32, 16, v7
	v_lshrrev_b32_e32 v8, 16, v29
                                        ; implicit-def: $vgpr13
	ds_write2_b32 v11, v10, v9 offset0:4 offset1:5
	s_waitcnt lgkmcnt(0)
	s_barrier
	buffer_gl0_inv
                                        ; implicit-def: $vgpr11
	s_and_saveexec_b32 s1, s0
	s_cbranch_execz .LBB0_12
; %bb.11:
	ds_read2_b32 v[10:11], v16 offset0:42 offset1:48
	ds_read2_b32 v[12:13], v16 offset0:54 offset1:60
	;; [unrolled: 1-line block ×5, first 2 shown]
	ds_read_b32 v17, v14
	s_waitcnt lgkmcnt(5)
	v_lshrrev_b32_e32 v31, 16, v11
	s_waitcnt lgkmcnt(4)
	v_lshrrev_b32_e32 v33, 16, v12
	v_lshrrev_b32_e32 v34, 16, v13
	s_waitcnt lgkmcnt(3)
	v_lshrrev_b32_e32 v28, 16, v6
	;; [unrolled: 3-line block ×4, first 2 shown]
	v_lshrrev_b32_e32 v35, 16, v9
	v_lshrrev_b32_e32 v36, 16, v10
.LBB0_12:
	s_or_b32 exec_lo, exec_lo, s1
	s_waitcnt lgkmcnt(0)
	s_barrier
	buffer_gl0_inv
	s_and_saveexec_b32 s1, s0
	s_cbranch_execz .LBB0_14
; %bb.13:
	v_add_nc_u32_e32 v18, -6, v0
	v_mov_b32_e32 v19, 0
	v_cndmask_b32_e64 v18, v18, v0, s0
	v_mul_i32_i24_e32 v18, 10, v18
	v_lshlrev_b64 v[18:19], 2, v[18:19]
	v_add_co_u32 v18, s0, s8, v18
	v_add_co_ci_u32_e64 v19, s0, s9, v19, s0
	s_clause 0x2
	global_load_dwordx4 v[37:40], v[18:19], off
	global_load_dwordx2 v[45:46], v[18:19], off offset:32
	global_load_dwordx4 v[41:44], v[18:19], off offset:16
	s_waitcnt vmcnt(2)
	v_mul_f16_sdwa v47, v28, v37 dst_sel:DWORD dst_unused:UNUSED_PAD src0_sel:DWORD src1_sel:WORD_1
	v_mul_f16_sdwa v49, v6, v37 dst_sel:DWORD dst_unused:UNUSED_PAD src0_sel:DWORD src1_sel:WORD_1
	;; [unrolled: 1-line block ×3, first 2 shown]
	s_waitcnt vmcnt(1)
	v_mul_f16_sdwa v51, v33, v45 dst_sel:DWORD dst_unused:UNUSED_PAD src0_sel:DWORD src1_sel:WORD_1
	v_mul_f16_sdwa v19, v12, v45 dst_sel:DWORD dst_unused:UNUSED_PAD src0_sel:DWORD src1_sel:WORD_1
	;; [unrolled: 1-line block ×5, first 2 shown]
	v_fma_f16 v47, v6, v37, -v47
	v_fmac_f16_e32 v49, v28, v37
	v_mul_f16_sdwa v48, v34, v46 dst_sel:DWORD dst_unused:UNUSED_PAD src0_sel:DWORD src1_sel:WORD_1
	v_mul_f16_sdwa v18, v13, v46 dst_sel:DWORD dst_unused:UNUSED_PAD src0_sel:DWORD src1_sel:WORD_1
	s_waitcnt vmcnt(0)
	v_mul_f16_sdwa v53, v31, v44 dst_sel:DWORD dst_unused:UNUSED_PAD src0_sel:DWORD src1_sel:WORD_1
	v_mul_f16_sdwa v54, v29, v40 dst_sel:DWORD dst_unused:UNUSED_PAD src0_sel:DWORD src1_sel:WORD_1
	;; [unrolled: 1-line block ×8, first 2 shown]
	v_fma_f16 v28, v7, v38, -v50
	v_fma_f16 v7, v12, v45, -v51
	v_fmac_f16_e32 v19, v33, v45
	v_fmac_f16_e32 v26, v32, v38
	v_fma_f16 v12, v4, v39, -v52
	v_fmac_f16_e32 v25, v30, v39
	v_add_f16_sdwa v38, v17, v49 dst_sel:DWORD dst_unused:UNUSED_PAD src0_sel:WORD_1 src1_sel:DWORD
	v_add_f16_e32 v39, v17, v47
	v_mul_f16_sdwa v21, v10, v43 dst_sel:DWORD dst_unused:UNUSED_PAD src0_sel:DWORD src1_sel:WORD_1
	v_mul_f16_sdwa v22, v9, v42 dst_sel:DWORD dst_unused:UNUSED_PAD src0_sel:DWORD src1_sel:WORD_1
	v_fma_f16 v6, v13, v46, -v48
	v_fmac_f16_e32 v18, v34, v46
	v_fma_f16 v4, v11, v44, -v53
	v_fma_f16 v11, v5, v40, -v54
	;; [unrolled: 1-line block ×5, first 2 shown]
	v_fmac_f16_e32 v20, v31, v44
	v_fmac_f16_e32 v24, v29, v40
	;; [unrolled: 1-line block ×3, first 2 shown]
	v_sub_f16_e32 v30, v28, v7
	v_add_f16_e32 v13, v26, v19
	v_sub_f16_e32 v40, v26, v19
	v_add_f16_e32 v41, v28, v7
	v_add_f16_e32 v26, v38, v26
	;; [unrolled: 1-line block ×3, first 2 shown]
	v_fmac_f16_e32 v21, v36, v43
	v_fmac_f16_e32 v22, v35, v42
	v_sub_f16_e32 v29, v47, v6
	v_sub_f16_e32 v32, v12, v4
	;; [unrolled: 1-line block ×5, first 2 shown]
	v_add_f16_e32 v9, v25, v20
	v_sub_f16_e32 v42, v25, v20
	v_add_f16_e32 v43, v12, v4
	v_add_f16_e32 v25, v26, v25
	;; [unrolled: 1-line block ×7, first 2 shown]
	v_sub_f16_e32 v44, v24, v21
	v_sub_f16_e32 v46, v23, v22
	v_mul_f16_e32 v48, 0xb482, v29
	v_mul_f16_e32 v49, 0x3853, v30
	;; [unrolled: 1-line block ×30, first 2 shown]
	v_add_f16_e32 v45, v11, v5
	v_add_f16_e32 v11, v12, v11
	;; [unrolled: 1-line block ×4, first 2 shown]
	v_mul_f16_e32 v38, 0x3853, v40
	v_mul_f16_e32 v39, 0x3beb, v40
	;; [unrolled: 1-line block ×20, first 2 shown]
	v_fmamk_f16 v86, v27, 0xbbad, v48
	v_fmamk_f16 v87, v13, 0x3abb, v49
	;; [unrolled: 1-line block ×13, first 2 shown]
	v_fma_f16 v48, v27, 0xbbad, -v48
	v_fma_f16 v52, v27, 0xb93d, -v52
	v_fma_f16 v56, v27, 0xb08e, -v56
	v_fma_f16 v60, v27, 0x36a6, -v60
	v_fma_f16 v27, v27, 0x3abb, -v29
	v_fmamk_f16 v29, v13, 0x36a6, v30
	v_fma_f16 v49, v13, 0x3abb, -v49
	v_fma_f16 v53, v13, 0xb08e, -v53
	v_fma_f16 v57, v13, 0xbbad, -v57
	v_fma_f16 v61, v13, 0xb93d, -v61
	v_fma_f16 v13, v13, 0x36a6, -v30
	v_fmamk_f16 v30, v9, 0xb08e, v32
	;; [unrolled: 6-line block ×3, first 2 shown]
	v_fma_f16 v51, v33, 0x36a6, -v51
	v_fmamk_f16 v99, v33, 0xbbad, v55
	v_fma_f16 v55, v33, 0xbbad, -v55
	v_fmamk_f16 v100, v33, 0x3abb, v59
	;; [unrolled: 2-line block ×9, first 2 shown]
	v_fma_f16 v34, v35, 0xbbad, -v34
	v_fma_f16 v35, v37, 0xbbad, -v68
	v_fma_f16 v107, v37, 0xb93d, -v69
	v_fma_f16 v108, v37, 0xb08e, -v70
	v_fma_f16 v109, v37, 0x36a6, -v71
	v_fma_f16 v110, v37, 0x3abb, -v36
	v_fmac_f16_e32 v68, 0xbbad, v37
	v_fmac_f16_e32 v69, 0xb93d, v37
	;; [unrolled: 1-line block ×3, first 2 shown]
	v_add_f16_e32 v10, v11, v10
	v_add_f16_e32 v11, v12, v23
	v_fmac_f16_e32 v71, 0x36a6, v37
	v_fmac_f16_e32 v36, 0x3abb, v37
	v_fma_f16 v37, v41, 0x3abb, -v38
	v_fmac_f16_e32 v38, 0x3abb, v41
	v_fma_f16 v111, v41, 0xb08e, -v39
	v_fmac_f16_e32 v39, 0xb08e, v41
	v_fma_f16 v112, v41, 0xbbad, -v72
	v_fmac_f16_e32 v72, 0xbbad, v41
	v_fma_f16 v113, v41, 0xb93d, -v73
	v_fmac_f16_e32 v73, 0xb93d, v41
	v_fma_f16 v114, v41, 0x36a6, -v40
	v_fmac_f16_e32 v40, 0x36a6, v41
	v_fma_f16 v26, v43, 0xb93d, -v74
	v_fmac_f16_e32 v74, 0xb93d, v43
	v_fma_f16 v28, v43, 0x3abb, -v75
	v_fmac_f16_e32 v75, 0x3abb, v43
	v_fma_f16 v41, v43, 0x36a6, -v76
	v_fmac_f16_e32 v76, 0x36a6, v43
	v_fma_f16 v115, v43, 0xbbad, -v77
	v_fmac_f16_e32 v77, 0xbbad, v43
	v_fma_f16 v116, v43, 0xb08e, -v42
	v_fmac_f16_e32 v42, 0xb08e, v43
	v_fma_f16 v43, v45, 0x36a6, -v78
	v_fmac_f16_e32 v78, 0x36a6, v45
	v_fma_f16 v117, v45, 0xbbad, -v79
	v_fmac_f16_e32 v79, 0xbbad, v45
	v_fma_f16 v118, v45, 0x3abb, -v80
	v_fmac_f16_e32 v80, 0x3abb, v45
	v_fma_f16 v119, v45, 0xb08e, -v81
	v_fmac_f16_e32 v81, 0xb08e, v45
	v_fma_f16 v120, v45, 0xb93d, -v44
	v_fmac_f16_e32 v44, 0xb93d, v45
	v_fma_f16 v45, v47, 0xb08e, -v82
	v_fmac_f16_e32 v82, 0xb08e, v47
	v_fma_f16 v121, v47, 0x36a6, -v83
	v_fmac_f16_e32 v83, 0x36a6, v47
	v_fma_f16 v122, v47, 0xb93d, -v84
	v_fmac_f16_e32 v84, 0xb93d, v47
	v_fma_f16 v123, v47, 0x3abb, -v85
	v_fmac_f16_e32 v85, 0x3abb, v47
	v_fma_f16 v124, v47, 0xbbad, -v46
	v_fmac_f16_e32 v46, 0xbbad, v47
	v_add_f16_sdwa v24, v17, v86 dst_sel:DWORD dst_unused:UNUSED_PAD src0_sel:WORD_1 src1_sel:DWORD
	v_add_f16_e32 v25, v17, v35
	v_add_f16_sdwa v35, v17, v89 dst_sel:DWORD dst_unused:UNUSED_PAD src0_sel:WORD_1 src1_sel:DWORD
	v_add_f16_e32 v47, v17, v107
	;; [unrolled: 2-line block ×8, first 2 shown]
	v_add_f16_e32 v8, v10, v8
	v_add_f16_e32 v10, v11, v22
	v_add_f16_sdwa v60, v17, v60 dst_sel:DWORD dst_unused:UNUSED_PAD src0_sel:WORD_1 src1_sel:DWORD
	v_add_f16_e32 v71, v17, v71
	v_add_f16_sdwa v27, v17, v27 dst_sel:DWORD dst_unused:UNUSED_PAD src0_sel:WORD_1 src1_sel:DWORD
	v_add_f16_e32 v17, v17, v36
	v_add_f16_e32 v24, v87, v24
	v_add_f16_e32 v25, v37, v25
	v_add_f16_e32 v35, v90, v35
	v_add_f16_e32 v36, v111, v47
	v_add_f16_e32 v37, v93, v86
	v_add_f16_e32 v47, v112, v89
	v_add_f16_e32 v86, v96, v92
	v_add_f16_e32 v87, v113, v95
	v_add_f16_e32 v29, v29, v98
	v_add_f16_e32 v89, v114, v107
	v_add_f16_e32 v12, v49, v48
	v_add_f16_e32 v23, v38, v68
	v_add_f16_e32 v38, v53, v52
	v_add_f16_e32 v39, v39, v69
	v_add_f16_e32 v48, v57, v56
	v_add_f16_e32 v49, v72, v70
	v_add_f16_e32 v5, v8, v5
	v_add_f16_e32 v8, v10, v21
	v_add_f16_e32 v52, v61, v60
	v_add_f16_e32 v53, v73, v71
	v_add_f16_e32 v13, v13, v27
	v_add_f16_e32 v17, v40, v17
	v_add_f16_e32 v24, v88, v24
	v_add_f16_e32 v25, v26, v25
	v_add_f16_e32 v26, v91, v35
	v_add_f16_e32 v27, v28, v36
	v_add_f16_e32 v28, v94, v37
	v_add_f16_e32 v35, v41, v47
	v_add_f16_e32 v36, v97, v86
	v_add_f16_e32 v37, v115, v87
	v_add_f16_e32 v29, v30, v29
	v_add_f16_e32 v30, v116, v89
	v_add_f16_e32 v11, v50, v12
	v_add_f16_e32 v12, v74, v23
	v_add_f16_e32 v22, v54, v38
	v_add_f16_e32 v23, v75, v39
	v_add_f16_e32 v38, v58, v48
	v_add_f16_e32 v39, v76, v49
	v_add_f16_e32 v4, v5, v4
	v_add_f16_e32 v5, v8, v20
	v_add_f16_e32 v40, v62, v52
	v_add_f16_e32 v41, v77, v53
	v_add_f16_e32 v9, v9, v13
	v_add_f16_e32 v13, v42, v17
	v_add_f16_e32 v17, v32, v24
	v_add_f16_e32 v24, v43, v25
	v_add_f16_e32 v25, v99, v26
	v_add_f16_e32 v26, v117, v27
	v_add_f16_e32 v27, v100, v28
	v_add_f16_e32 v28, v118, v35
	v_add_f16_e32 v32, v101, v36
	v_add_f16_e32 v35, v119, v37
	v_add_f16_e32 v29, v102, v29
	v_add_f16_e32 v30, v120, v30
	v_add_f16_e32 v10, v51, v11
	v_add_f16_e32 v11, v78, v12
	v_add_f16_e32 v12, v55, v22
	v_add_f16_e32 v21, v79, v23
	v_add_f16_e32 v22, v59, v38
	v_add_f16_e32 v23, v80, v39
	v_add_f16_e32 v4, v4, v7
	v_add_f16_e32 v5, v5, v19
	v_add_f16_e32 v36, v63, v40
	v_add_f16_e32 v37, v81, v41
	v_add_f16_e32 v9, v31, v9
	v_add_f16_e32 v13, v44, v13
	v_add_f16_e32 v31, v105, v32
	v_add_f16_e32 v32, v123, v35
	v_add_f16_e32 v29, v106, v29
	v_add_f16_e32 v30, v124, v30
	v_add_f16_e32 v25, v103, v25
	v_add_f16_e32 v26, v121, v26
	v_add_f16_e32 v27, v104, v27
	v_add_f16_e32 v28, v122, v28
	v_add_f16_e32 v17, v33, v17
	v_add_f16_e32 v24, v45, v24
	v_add_f16_e32 v8, v64, v10
	v_add_f16_e32 v10, v82, v11
	v_add_f16_e32 v11, v65, v12
	v_add_f16_e32 v12, v83, v21
	v_add_f16_e32 v20, v66, v22
	v_add_f16_e32 v21, v84, v23
	v_add_f16_e32 v4, v4, v6
	v_add_f16_e32 v5, v5, v18
	v_add_f16_e32 v22, v67, v36
	v_add_f16_e32 v23, v85, v37
	v_add_f16_e32 v9, v34, v9
	v_add_f16_e32 v13, v46, v13
	v_pack_b32_f16 v7, v30, v29
	v_pack_b32_f16 v19, v32, v31
	;; [unrolled: 1-line block ×11, first 2 shown]
	ds_write2_b32 v16, v7, v19 offset0:6 offset1:12
	ds_write2_b32 v16, v27, v25 offset0:18 offset1:24
	;; [unrolled: 1-line block ×4, first 2 shown]
	ds_write_b32 v14, v4
	ds_write2_b32 v16, v11, v9 offset0:54 offset1:60
.LBB0_14:
	s_or_b32 exec_lo, exec_lo, s1
	s_waitcnt lgkmcnt(0)
	s_barrier
	buffer_gl0_inv
	ds_read_b32 v9, v14
	v_sub_nc_u32_e32 v6, v1, v15
	s_mov_b32 s1, exec_lo
                                        ; implicit-def: $vgpr8
                                        ; implicit-def: $vgpr7
                                        ; implicit-def: $vgpr4_vgpr5
	v_cmpx_ne_u32_e32 0, v0
	s_xor_b32 s1, exec_lo, s1
	s_cbranch_execz .LBB0_16
; %bb.15:
	v_mov_b32_e32 v1, 0
	v_lshlrev_b64 v[4:5], 2, v[0:1]
	v_add_co_u32 v4, s0, s8, v4
	v_add_co_ci_u32_e64 v5, s0, s9, v5, s0
	global_load_dword v4, v[4:5], off offset:240
	ds_read_b32 v5, v6 offset:264
	s_waitcnt lgkmcnt(0)
	v_sub_f16_e32 v7, v9, v5
	v_add_f16_sdwa v8, v5, v9 dst_sel:DWORD dst_unused:UNUSED_PAD src0_sel:WORD_1 src1_sel:WORD_1
	v_sub_f16_sdwa v10, v9, v5 dst_sel:DWORD dst_unused:UNUSED_PAD src0_sel:WORD_1 src1_sel:WORD_1
	v_add_f16_e32 v5, v5, v9
	v_mul_f16_e32 v11, 0.5, v7
	v_mul_f16_e32 v8, 0.5, v8
	;; [unrolled: 1-line block ×3, first 2 shown]
	s_waitcnt vmcnt(0)
	v_lshrrev_b32_e32 v7, 16, v4
	v_mul_f16_e32 v9, v7, v11
	v_fma_f16 v12, v8, v7, v10
	v_fma_f16 v10, v8, v7, -v10
	v_fma_f16 v7, 0.5, v5, v9
	v_fma_f16 v5, v5, 0.5, -v9
	v_fma_f16 v9, -v4, v11, v12
	v_fma_f16 v10, -v4, v11, v10
	ds_write_b16 v14, v9 offset:2
	ds_write_b16 v6, v10 offset:266
	v_fmac_f16_e32 v7, v4, v8
	v_fma_f16 v8, -v4, v8, v5
	v_mov_b32_e32 v5, v1
	v_mov_b32_e32 v4, v0
                                        ; implicit-def: $vgpr9
                                        ; implicit-def: $vgpr1
.LBB0_16:
	s_andn2_saveexec_b32 s0, s1
	s_cbranch_execz .LBB0_18
; %bb.17:
	v_mov_b32_e32 v4, 0
	s_waitcnt lgkmcnt(0)
	v_add_f16_sdwa v7, v9, v9 dst_sel:DWORD dst_unused:UNUSED_PAD src0_sel:WORD_1 src1_sel:DWORD
	v_sub_f16_sdwa v8, v9, v9 dst_sel:DWORD dst_unused:UNUSED_PAD src0_sel:DWORD src1_sel:WORD_1
	ds_write_b16 v14, v4 offset:2
	ds_write_b16 v6, v4 offset:266
	ds_read_u16 v4, v1 offset:134
	s_waitcnt lgkmcnt(0)
	v_xor_b32_e32 v10, 0x8000, v4
	v_mov_b32_e32 v4, 0
	v_mov_b32_e32 v5, 0
	ds_write_b16 v1, v10 offset:134
.LBB0_18:
	s_or_b32 exec_lo, exec_lo, s0
	v_lshlrev_b64 v[4:5], 2, v[4:5]
	s_add_u32 s0, s8, 0xf0
	s_addc_u32 s1, s9, 0
	s_waitcnt lgkmcnt(0)
	v_add_co_u32 v9, s0, s0, v4
	v_add_co_ci_u32_e64 v10, s0, s1, v5, s0
	s_clause 0x1
	global_load_dword v1, v[9:10], off offset:44
	global_load_dword v9, v[9:10], off offset:88
	ds_write_b16 v14, v7
	ds_write_b16 v6, v8 offset:264
	ds_read_b32 v7, v14 offset:44
	ds_read_b32 v8, v6 offset:220
	s_waitcnt lgkmcnt(0)
	v_pk_add_f16 v10, v7, v8 neg_lo:[0,1] neg_hi:[0,1]
	v_pk_add_f16 v7, v7, v8
	v_bfi_b32 v8, 0xffff, v10, v7
	v_bfi_b32 v7, 0xffff, v7, v10
	v_pk_mul_f16 v8, v8, 0.5 op_sel_hi:[1,0]
	v_pk_mul_f16 v11, v7, 0.5 op_sel_hi:[1,0]
	s_waitcnt vmcnt(1)
	v_pk_mul_f16 v10, v1, v8 op_sel:[1,0]
	v_pk_mul_f16 v1, v1, v8 op_sel_hi:[0,1]
	v_pk_fma_f16 v7, v7, 0.5, v10 op_sel_hi:[1,0,1]
	v_sub_f16_sdwa v8, v10, v11 dst_sel:DWORD dst_unused:UNUSED_PAD src0_sel:WORD_1 src1_sel:WORD_1
	v_sub_f16_e32 v10, v11, v10
	v_pk_add_f16 v12, v7, v1 op_sel:[0,1] op_sel_hi:[1,0]
	v_pk_add_f16 v7, v7, v1 op_sel:[0,1] op_sel_hi:[1,0] neg_lo:[0,1] neg_hi:[0,1]
	v_sub_f16_e32 v8, v8, v1
	v_sub_f16_sdwa v1, v10, v1 dst_sel:DWORD dst_unused:UNUSED_PAD src0_sel:DWORD src1_sel:WORD_1
	v_bfi_b32 v7, 0xffff, v12, v7
	ds_write_b16 v6, v8 offset:222
	ds_write_b32 v14, v7 offset:44
	ds_write_b16 v6, v1 offset:220
	ds_read_b32 v1, v14 offset:88
	ds_read_b32 v7, v6 offset:176
	s_waitcnt lgkmcnt(0)
	v_pk_add_f16 v8, v1, v7 neg_lo:[0,1] neg_hi:[0,1]
	v_pk_add_f16 v1, v1, v7
	v_bfi_b32 v7, 0xffff, v8, v1
	v_bfi_b32 v1, 0xffff, v1, v8
	v_pk_mul_f16 v7, v7, 0.5 op_sel_hi:[1,0]
	v_pk_mul_f16 v1, v1, 0.5 op_sel_hi:[1,0]
	s_waitcnt vmcnt(0)
	v_pk_mul_f16 v10, v9, v7 op_sel_hi:[0,1]
	v_pk_fma_f16 v8, v9, v7, v1 op_sel:[1,0,0]
	v_pk_fma_f16 v11, v9, v7, v1 op_sel:[1,0,0] neg_lo:[1,0,0] neg_hi:[1,0,0]
	v_pk_fma_f16 v1, v9, v7, v1 op_sel:[1,0,0] neg_lo:[0,0,1] neg_hi:[0,0,1]
	v_pk_add_f16 v7, v8, v10 op_sel:[0,1] op_sel_hi:[1,0]
	v_pk_add_f16 v8, v8, v10 op_sel:[0,1] op_sel_hi:[1,0] neg_lo:[0,1] neg_hi:[0,1]
	v_pk_add_f16 v9, v11, v10 op_sel:[0,1] op_sel_hi:[1,0] neg_lo:[0,1] neg_hi:[0,1]
	;; [unrolled: 1-line block ×3, first 2 shown]
	v_bfi_b32 v7, 0xffff, v7, v8
	v_bfi_b32 v1, 0xffff, v9, v1
	ds_write_b32 v14, v7 offset:88
	ds_write_b32 v6, v1 offset:176
	s_waitcnt lgkmcnt(0)
	s_barrier
	buffer_gl0_inv
	s_and_saveexec_b32 s0, vcc_lo
	s_cbranch_execz .LBB0_21
; %bb.19:
	ds_read2_b32 v[6:7], v14 offset1:11
	ds_read2_b32 v[8:9], v14 offset0:22 offset1:33
	ds_read2_b32 v[10:11], v14 offset0:44 offset1:55
	v_add_co_u32 v1, vcc_lo, s2, v2
	v_add_co_ci_u32_e32 v2, vcc_lo, s3, v3, vcc_lo
	v_add_co_u32 v3, vcc_lo, v1, v4
	v_add_co_ci_u32_e32 v4, vcc_lo, v2, v5, vcc_lo
	v_cmp_eq_u32_e32 vcc_lo, 10, v0
	s_waitcnt lgkmcnt(2)
	global_store_dword v[3:4], v6, off
	global_store_dword v[3:4], v7, off offset:44
	s_waitcnt lgkmcnt(1)
	global_store_dword v[3:4], v8, off offset:88
	global_store_dword v[3:4], v9, off offset:132
	s_waitcnt lgkmcnt(0)
	global_store_dword v[3:4], v10, off offset:176
	global_store_dword v[3:4], v11, off offset:220
	s_and_b32 exec_lo, exec_lo, vcc_lo
	s_cbranch_execz .LBB0_21
; %bb.20:
	ds_read_b32 v0, v14 offset:224
	s_waitcnt lgkmcnt(0)
	global_store_dword v[1:2], v0, off offset:264
.LBB0_21:
	s_endpgm
	.section	.rodata,"a",@progbits
	.p2align	6, 0x0
	.amdhsa_kernel fft_rtc_fwd_len66_factors_6_11_wgs_253_tpt_11_half_ip_CI_unitstride_sbrr_R2C_dirReg
		.amdhsa_group_segment_fixed_size 0
		.amdhsa_private_segment_fixed_size 0
		.amdhsa_kernarg_size 88
		.amdhsa_user_sgpr_count 6
		.amdhsa_user_sgpr_private_segment_buffer 1
		.amdhsa_user_sgpr_dispatch_ptr 0
		.amdhsa_user_sgpr_queue_ptr 0
		.amdhsa_user_sgpr_kernarg_segment_ptr 1
		.amdhsa_user_sgpr_dispatch_id 0
		.amdhsa_user_sgpr_flat_scratch_init 0
		.amdhsa_user_sgpr_private_segment_size 0
		.amdhsa_wavefront_size32 1
		.amdhsa_uses_dynamic_stack 0
		.amdhsa_system_sgpr_private_segment_wavefront_offset 0
		.amdhsa_system_sgpr_workgroup_id_x 1
		.amdhsa_system_sgpr_workgroup_id_y 0
		.amdhsa_system_sgpr_workgroup_id_z 0
		.amdhsa_system_sgpr_workgroup_info 0
		.amdhsa_system_vgpr_workitem_id 0
		.amdhsa_next_free_vgpr 125
		.amdhsa_next_free_sgpr 21
		.amdhsa_reserve_vcc 1
		.amdhsa_reserve_flat_scratch 0
		.amdhsa_float_round_mode_32 0
		.amdhsa_float_round_mode_16_64 0
		.amdhsa_float_denorm_mode_32 3
		.amdhsa_float_denorm_mode_16_64 3
		.amdhsa_dx10_clamp 1
		.amdhsa_ieee_mode 1
		.amdhsa_fp16_overflow 0
		.amdhsa_workgroup_processor_mode 1
		.amdhsa_memory_ordered 1
		.amdhsa_forward_progress 0
		.amdhsa_shared_vgpr_count 0
		.amdhsa_exception_fp_ieee_invalid_op 0
		.amdhsa_exception_fp_denorm_src 0
		.amdhsa_exception_fp_ieee_div_zero 0
		.amdhsa_exception_fp_ieee_overflow 0
		.amdhsa_exception_fp_ieee_underflow 0
		.amdhsa_exception_fp_ieee_inexact 0
		.amdhsa_exception_int_div_zero 0
	.end_amdhsa_kernel
	.text
.Lfunc_end0:
	.size	fft_rtc_fwd_len66_factors_6_11_wgs_253_tpt_11_half_ip_CI_unitstride_sbrr_R2C_dirReg, .Lfunc_end0-fft_rtc_fwd_len66_factors_6_11_wgs_253_tpt_11_half_ip_CI_unitstride_sbrr_R2C_dirReg
                                        ; -- End function
	.section	.AMDGPU.csdata,"",@progbits
; Kernel info:
; codeLenInByte = 5356
; NumSgprs: 23
; NumVgprs: 125
; ScratchSize: 0
; MemoryBound: 0
; FloatMode: 240
; IeeeMode: 1
; LDSByteSize: 0 bytes/workgroup (compile time only)
; SGPRBlocks: 2
; VGPRBlocks: 15
; NumSGPRsForWavesPerEU: 23
; NumVGPRsForWavesPerEU: 125
; Occupancy: 8
; WaveLimiterHint : 1
; COMPUTE_PGM_RSRC2:SCRATCH_EN: 0
; COMPUTE_PGM_RSRC2:USER_SGPR: 6
; COMPUTE_PGM_RSRC2:TRAP_HANDLER: 0
; COMPUTE_PGM_RSRC2:TGID_X_EN: 1
; COMPUTE_PGM_RSRC2:TGID_Y_EN: 0
; COMPUTE_PGM_RSRC2:TGID_Z_EN: 0
; COMPUTE_PGM_RSRC2:TIDIG_COMP_CNT: 0
	.text
	.p2alignl 6, 3214868480
	.fill 48, 4, 3214868480
	.type	__hip_cuid_cceb8f9a8171db74,@object ; @__hip_cuid_cceb8f9a8171db74
	.section	.bss,"aw",@nobits
	.globl	__hip_cuid_cceb8f9a8171db74
__hip_cuid_cceb8f9a8171db74:
	.byte	0                               ; 0x0
	.size	__hip_cuid_cceb8f9a8171db74, 1

	.ident	"AMD clang version 19.0.0git (https://github.com/RadeonOpenCompute/llvm-project roc-6.4.0 25133 c7fe45cf4b819c5991fe208aaa96edf142730f1d)"
	.section	".note.GNU-stack","",@progbits
	.addrsig
	.addrsig_sym __hip_cuid_cceb8f9a8171db74
	.amdgpu_metadata
---
amdhsa.kernels:
  - .args:
      - .actual_access:  read_only
        .address_space:  global
        .offset:         0
        .size:           8
        .value_kind:     global_buffer
      - .offset:         8
        .size:           8
        .value_kind:     by_value
      - .actual_access:  read_only
        .address_space:  global
        .offset:         16
        .size:           8
        .value_kind:     global_buffer
      - .actual_access:  read_only
        .address_space:  global
        .offset:         24
        .size:           8
        .value_kind:     global_buffer
      - .offset:         32
        .size:           8
        .value_kind:     by_value
      - .actual_access:  read_only
        .address_space:  global
        .offset:         40
        .size:           8
        .value_kind:     global_buffer
      - .actual_access:  read_only
        .address_space:  global
        .offset:         48
        .size:           8
        .value_kind:     global_buffer
      - .offset:         56
        .size:           4
        .value_kind:     by_value
      - .actual_access:  read_only
        .address_space:  global
        .offset:         64
        .size:           8
        .value_kind:     global_buffer
      - .actual_access:  read_only
        .address_space:  global
        .offset:         72
        .size:           8
        .value_kind:     global_buffer
      - .address_space:  global
        .offset:         80
        .size:           8
        .value_kind:     global_buffer
    .group_segment_fixed_size: 0
    .kernarg_segment_align: 8
    .kernarg_segment_size: 88
    .language:       OpenCL C
    .language_version:
      - 2
      - 0
    .max_flat_workgroup_size: 253
    .name:           fft_rtc_fwd_len66_factors_6_11_wgs_253_tpt_11_half_ip_CI_unitstride_sbrr_R2C_dirReg
    .private_segment_fixed_size: 0
    .sgpr_count:     23
    .sgpr_spill_count: 0
    .symbol:         fft_rtc_fwd_len66_factors_6_11_wgs_253_tpt_11_half_ip_CI_unitstride_sbrr_R2C_dirReg.kd
    .uniform_work_group_size: 1
    .uses_dynamic_stack: false
    .vgpr_count:     125
    .vgpr_spill_count: 0
    .wavefront_size: 32
    .workgroup_processor_mode: 1
amdhsa.target:   amdgcn-amd-amdhsa--gfx1030
amdhsa.version:
  - 1
  - 2
...

	.end_amdgpu_metadata
